;; amdgpu-corpus repo=ROCm/rocFFT kind=compiled arch=gfx906 opt=O3
	.text
	.amdgcn_target "amdgcn-amd-amdhsa--gfx906"
	.amdhsa_code_object_version 6
	.protected	fft_rtc_fwd_len330_factors_11_10_3_wgs_99_tpt_33_sp_ip_CI_sbrr_dirReg ; -- Begin function fft_rtc_fwd_len330_factors_11_10_3_wgs_99_tpt_33_sp_ip_CI_sbrr_dirReg
	.globl	fft_rtc_fwd_len330_factors_11_10_3_wgs_99_tpt_33_sp_ip_CI_sbrr_dirReg
	.p2align	8
	.type	fft_rtc_fwd_len330_factors_11_10_3_wgs_99_tpt_33_sp_ip_CI_sbrr_dirReg,@function
fft_rtc_fwd_len330_factors_11_10_3_wgs_99_tpt_33_sp_ip_CI_sbrr_dirReg: ; @fft_rtc_fwd_len330_factors_11_10_3_wgs_99_tpt_33_sp_ip_CI_sbrr_dirReg
; %bb.0:
	s_load_dwordx2 s[2:3], s[4:5], 0x18
	s_load_dwordx4 s[8:11], s[4:5], 0x0
	s_load_dwordx2 s[14:15], s[4:5], 0x50
	v_mul_u32_u24_e32 v1, 0x7c2, v0
	v_lshrrev_b32_e32 v1, 16, v1
	s_waitcnt lgkmcnt(0)
	s_load_dwordx2 s[12:13], s[2:3], 0x0
	v_mad_u64_u32 v[1:2], s[0:1], s6, 3, v[1:2]
	v_mov_b32_e32 v5, 0
	v_cmp_lt_u64_e64 s[0:1], s[10:11], 2
	v_mov_b32_e32 v2, v5
	v_mov_b32_e32 v3, 0
	;; [unrolled: 1-line block ×3, first 2 shown]
	s_and_b64 vcc, exec, s[0:1]
	v_mov_b32_e32 v4, 0
	v_mov_b32_e32 v9, v1
	s_cbranch_vccnz .LBB0_8
; %bb.1:
	s_load_dwordx2 s[0:1], s[4:5], 0x10
	s_add_u32 s6, s2, 8
	s_addc_u32 s7, s3, 0
	v_mov_b32_e32 v3, 0
	v_mov_b32_e32 v8, v2
	s_waitcnt lgkmcnt(0)
	s_add_u32 s18, s0, 8
	s_mov_b64 s[16:17], 1
	v_mov_b32_e32 v4, 0
	s_addc_u32 s19, s1, 0
	v_mov_b32_e32 v7, v1
.LBB0_2:                                ; =>This Inner Loop Header: Depth=1
	s_load_dwordx2 s[20:21], s[18:19], 0x0
                                        ; implicit-def: $vgpr9_vgpr10
	s_waitcnt lgkmcnt(0)
	v_or_b32_e32 v6, s21, v8
	v_cmp_ne_u64_e32 vcc, 0, v[5:6]
	s_and_saveexec_b64 s[0:1], vcc
	s_xor_b64 s[22:23], exec, s[0:1]
	s_cbranch_execz .LBB0_4
; %bb.3:                                ;   in Loop: Header=BB0_2 Depth=1
	v_cvt_f32_u32_e32 v2, s20
	v_cvt_f32_u32_e32 v6, s21
	s_sub_u32 s0, 0, s20
	s_subb_u32 s1, 0, s21
	v_mac_f32_e32 v2, 0x4f800000, v6
	v_rcp_f32_e32 v2, v2
	v_mul_f32_e32 v2, 0x5f7ffffc, v2
	v_mul_f32_e32 v6, 0x2f800000, v2
	v_trunc_f32_e32 v6, v6
	v_mac_f32_e32 v2, 0xcf800000, v6
	v_cvt_u32_f32_e32 v6, v6
	v_cvt_u32_f32_e32 v2, v2
	v_mul_lo_u32 v9, s0, v6
	v_mul_hi_u32 v10, s0, v2
	v_mul_lo_u32 v12, s1, v2
	v_mul_lo_u32 v11, s0, v2
	v_add_u32_e32 v9, v10, v9
	v_add_u32_e32 v9, v9, v12
	v_mul_hi_u32 v10, v2, v11
	v_mul_lo_u32 v12, v2, v9
	v_mul_hi_u32 v14, v2, v9
	v_mul_hi_u32 v13, v6, v11
	v_mul_lo_u32 v11, v6, v11
	v_mul_hi_u32 v15, v6, v9
	v_add_co_u32_e32 v10, vcc, v10, v12
	v_addc_co_u32_e32 v12, vcc, 0, v14, vcc
	v_mul_lo_u32 v9, v6, v9
	v_add_co_u32_e32 v10, vcc, v10, v11
	v_addc_co_u32_e32 v10, vcc, v12, v13, vcc
	v_addc_co_u32_e32 v11, vcc, 0, v15, vcc
	v_add_co_u32_e32 v9, vcc, v10, v9
	v_addc_co_u32_e32 v10, vcc, 0, v11, vcc
	v_add_co_u32_e32 v2, vcc, v2, v9
	v_addc_co_u32_e32 v6, vcc, v6, v10, vcc
	v_mul_lo_u32 v9, s0, v6
	v_mul_hi_u32 v10, s0, v2
	v_mul_lo_u32 v11, s1, v2
	v_mul_lo_u32 v12, s0, v2
	v_add_u32_e32 v9, v10, v9
	v_add_u32_e32 v9, v9, v11
	v_mul_lo_u32 v13, v2, v9
	v_mul_hi_u32 v14, v2, v12
	v_mul_hi_u32 v15, v2, v9
	;; [unrolled: 1-line block ×3, first 2 shown]
	v_mul_lo_u32 v12, v6, v12
	v_mul_hi_u32 v10, v6, v9
	v_add_co_u32_e32 v13, vcc, v14, v13
	v_addc_co_u32_e32 v14, vcc, 0, v15, vcc
	v_mul_lo_u32 v9, v6, v9
	v_add_co_u32_e32 v12, vcc, v13, v12
	v_addc_co_u32_e32 v11, vcc, v14, v11, vcc
	v_addc_co_u32_e32 v10, vcc, 0, v10, vcc
	v_add_co_u32_e32 v9, vcc, v11, v9
	v_addc_co_u32_e32 v10, vcc, 0, v10, vcc
	v_add_co_u32_e32 v2, vcc, v2, v9
	v_addc_co_u32_e32 v6, vcc, v6, v10, vcc
	v_mad_u64_u32 v[9:10], s[0:1], v7, v6, 0
	v_mul_hi_u32 v11, v7, v2
	v_add_co_u32_e32 v13, vcc, v11, v9
	v_addc_co_u32_e32 v14, vcc, 0, v10, vcc
	v_mad_u64_u32 v[9:10], s[0:1], v8, v2, 0
	v_mad_u64_u32 v[11:12], s[0:1], v8, v6, 0
	v_add_co_u32_e32 v2, vcc, v13, v9
	v_addc_co_u32_e32 v2, vcc, v14, v10, vcc
	v_addc_co_u32_e32 v6, vcc, 0, v12, vcc
	v_add_co_u32_e32 v2, vcc, v2, v11
	v_addc_co_u32_e32 v6, vcc, 0, v6, vcc
	v_mul_lo_u32 v11, s21, v2
	v_mul_lo_u32 v12, s20, v6
	v_mad_u64_u32 v[9:10], s[0:1], s20, v2, 0
	v_add3_u32 v10, v10, v12, v11
	v_sub_u32_e32 v11, v8, v10
	v_mov_b32_e32 v12, s21
	v_sub_co_u32_e32 v9, vcc, v7, v9
	v_subb_co_u32_e64 v11, s[0:1], v11, v12, vcc
	v_subrev_co_u32_e64 v12, s[0:1], s20, v9
	v_subbrev_co_u32_e64 v11, s[0:1], 0, v11, s[0:1]
	v_cmp_le_u32_e64 s[0:1], s21, v11
	v_cndmask_b32_e64 v13, 0, -1, s[0:1]
	v_cmp_le_u32_e64 s[0:1], s20, v12
	v_cndmask_b32_e64 v12, 0, -1, s[0:1]
	v_cmp_eq_u32_e64 s[0:1], s21, v11
	v_cndmask_b32_e64 v11, v13, v12, s[0:1]
	v_add_co_u32_e64 v12, s[0:1], 2, v2
	v_addc_co_u32_e64 v13, s[0:1], 0, v6, s[0:1]
	v_add_co_u32_e64 v14, s[0:1], 1, v2
	v_addc_co_u32_e64 v15, s[0:1], 0, v6, s[0:1]
	v_subb_co_u32_e32 v10, vcc, v8, v10, vcc
	v_cmp_ne_u32_e64 s[0:1], 0, v11
	v_cmp_le_u32_e32 vcc, s21, v10
	v_cndmask_b32_e64 v11, v15, v13, s[0:1]
	v_cndmask_b32_e64 v13, 0, -1, vcc
	v_cmp_le_u32_e32 vcc, s20, v9
	v_cndmask_b32_e64 v9, 0, -1, vcc
	v_cmp_eq_u32_e32 vcc, s21, v10
	v_cndmask_b32_e32 v9, v13, v9, vcc
	v_cmp_ne_u32_e32 vcc, 0, v9
	v_cndmask_b32_e32 v10, v6, v11, vcc
	v_cndmask_b32_e64 v6, v14, v12, s[0:1]
	v_cndmask_b32_e32 v9, v2, v6, vcc
.LBB0_4:                                ;   in Loop: Header=BB0_2 Depth=1
	s_andn2_saveexec_b64 s[0:1], s[22:23]
	s_cbranch_execz .LBB0_6
; %bb.5:                                ;   in Loop: Header=BB0_2 Depth=1
	v_cvt_f32_u32_e32 v2, s20
	s_sub_i32 s22, 0, s20
	v_rcp_iflag_f32_e32 v2, v2
	v_mul_f32_e32 v2, 0x4f7ffffe, v2
	v_cvt_u32_f32_e32 v2, v2
	v_mul_lo_u32 v6, s22, v2
	v_mul_hi_u32 v6, v2, v6
	v_add_u32_e32 v2, v2, v6
	v_mul_hi_u32 v2, v7, v2
	v_mul_lo_u32 v6, v2, s20
	v_add_u32_e32 v9, 1, v2
	v_sub_u32_e32 v6, v7, v6
	v_subrev_u32_e32 v10, s20, v6
	v_cmp_le_u32_e32 vcc, s20, v6
	v_cndmask_b32_e32 v6, v6, v10, vcc
	v_cndmask_b32_e32 v2, v2, v9, vcc
	v_add_u32_e32 v9, 1, v2
	v_cmp_le_u32_e32 vcc, s20, v6
	v_cndmask_b32_e32 v9, v2, v9, vcc
	v_mov_b32_e32 v10, v5
.LBB0_6:                                ;   in Loop: Header=BB0_2 Depth=1
	s_or_b64 exec, exec, s[0:1]
	v_mul_lo_u32 v2, v10, s20
	v_mul_lo_u32 v6, v9, s21
	v_mad_u64_u32 v[11:12], s[0:1], v9, s20, 0
	s_load_dwordx2 s[0:1], s[6:7], 0x0
	s_add_u32 s16, s16, 1
	v_add3_u32 v2, v12, v6, v2
	v_sub_co_u32_e32 v6, vcc, v7, v11
	v_subb_co_u32_e32 v2, vcc, v8, v2, vcc
	s_waitcnt lgkmcnt(0)
	v_mul_lo_u32 v2, s0, v2
	v_mul_lo_u32 v7, s1, v6
	v_mad_u64_u32 v[3:4], s[0:1], s0, v6, v[3:4]
	s_addc_u32 s17, s17, 0
	s_add_u32 s6, s6, 8
	v_add3_u32 v4, v7, v4, v2
	v_mov_b32_e32 v6, s10
	v_mov_b32_e32 v7, s11
	s_addc_u32 s7, s7, 0
	v_cmp_ge_u64_e32 vcc, s[16:17], v[6:7]
	s_add_u32 s18, s18, 8
	s_addc_u32 s19, s19, 0
	s_cbranch_vccnz .LBB0_8
; %bb.7:                                ;   in Loop: Header=BB0_2 Depth=1
	v_mov_b32_e32 v7, v9
	v_mov_b32_e32 v8, v10
	s_branch .LBB0_2
.LBB0_8:
	s_lshl_b64 s[0:1], s[10:11], 3
	s_add_u32 s0, s2, s0
	s_addc_u32 s1, s3, s1
	s_load_dwordx2 s[0:1], s[0:1], 0x0
	s_mov_b32 s2, 0xaaaaaaab
	v_mul_hi_u32 v5, v1, s2
	s_mov_b32 s2, 0x7c1f07d
	s_waitcnt lgkmcnt(0)
	v_mul_lo_u32 v6, s0, v10
	v_mul_lo_u32 v7, s1, v9
	v_mad_u64_u32 v[2:3], s[0:1], s0, v9, v[3:4]
	s_load_dwordx2 s[0:1], s[4:5], 0x20
	v_lshrrev_b32_e32 v4, 1, v5
	v_mul_hi_u32 v5, v0, s2
	v_lshl_add_u32 v4, v4, 1, v4
	v_sub_u32_e32 v1, v1, v4
	v_add3_u32 v3, v7, v3, v6
	v_mul_u32_u24_e32 v31, 0x14a, v1
	v_mul_u32_u24_e32 v1, 33, v5
	s_waitcnt lgkmcnt(0)
	v_cmp_gt_u64_e32 vcc, s[0:1], v[9:10]
	v_sub_u32_e32 v28, v0, v1
	v_lshlrev_b64 v[24:25], 3, v[2:3]
	v_lshlrev_b32_e32 v33, 3, v31
	v_lshlrev_b32_e32 v0, 3, v28
	v_add_u32_e32 v29, 33, v28
	s_and_saveexec_b64 s[2:3], vcc
	s_cbranch_execz .LBB0_10
; %bb.9:
	v_mad_u64_u32 v[1:2], s[0:1], s12, v28, 0
	v_mov_b32_e32 v5, s15
	v_add_u32_e32 v7, 0x42, v28
	v_mad_u64_u32 v[2:3], s[0:1], s13, v28, v[2:3]
	v_mad_u64_u32 v[3:4], s[0:1], s12, v29, 0
	v_add_co_u32_e64 v22, s[0:1], s14, v24
	v_addc_co_u32_e64 v23, s[0:1], v5, v25, s[0:1]
	v_mad_u64_u32 v[4:5], s[0:1], s13, v29, v[4:5]
	v_mad_u64_u32 v[5:6], s[0:1], s12, v7, 0
	v_lshlrev_b64 v[1:2], 3, v[1:2]
	v_add_u32_e32 v9, 0x63, v28
	v_add_co_u32_e64 v1, s[0:1], v22, v1
	v_addc_co_u32_e64 v2, s[0:1], v23, v2, s[0:1]
	v_mad_u64_u32 v[6:7], s[0:1], s13, v7, v[6:7]
	v_mad_u64_u32 v[7:8], s[0:1], s12, v9, 0
	v_lshlrev_b64 v[3:4], 3, v[3:4]
	v_add_u32_e32 v11, 0x84, v28
	;; [unrolled: 6-line block ×7, first 2 shown]
	v_add_co_u32_e64 v13, s[0:1], v22, v13
	v_addc_co_u32_e64 v14, s[0:1], v23, v14, s[0:1]
	v_mad_u64_u32 v[18:19], s[0:1], s13, v19, v[18:19]
	v_mad_u64_u32 v[19:20], s[0:1], s12, v21, 0
	v_lshlrev_b64 v[15:16], 3, v[15:16]
	v_lshlrev_b64 v[17:18], 3, v[17:18]
	v_add_co_u32_e64 v15, s[0:1], v22, v15
	v_addc_co_u32_e64 v16, s[0:1], v23, v16, s[0:1]
	v_mad_u64_u32 v[20:21], s[0:1], s13, v21, v[20:21]
	v_add_co_u32_e64 v17, s[0:1], v22, v17
	v_lshlrev_b64 v[19:20], 3, v[19:20]
	v_addc_co_u32_e64 v18, s[0:1], v23, v18, s[0:1]
	v_add_co_u32_e64 v19, s[0:1], v22, v19
	v_addc_co_u32_e64 v20, s[0:1], v23, v20, s[0:1]
	global_load_dwordx2 v[21:22], v[1:2], off
	global_load_dwordx2 v[26:27], v[3:4], off
	;; [unrolled: 1-line block ×10, first 2 shown]
	v_add3_u32 v1, 0, v33, v0
	s_waitcnt vmcnt(8)
	ds_write2_b64 v1, v[21:22], v[26:27] offset1:33
	s_waitcnt vmcnt(6)
	ds_write2_b64 v1, v[34:35], v[36:37] offset0:66 offset1:99
	s_waitcnt vmcnt(4)
	ds_write2_b64 v1, v[38:39], v[40:41] offset0:132 offset1:165
	;; [unrolled: 2-line block ×3, first 2 shown]
	v_add_u32_e32 v1, 0x800, v1
	s_waitcnt vmcnt(0)
	ds_write2_b64 v1, v[46:47], v[48:49] offset0:8 offset1:41
.LBB0_10:
	s_or_b64 exec, exec, s[2:3]
	v_add_u32_e32 v34, 0, v0
	v_add_u32_e32 v32, v34, v33
	;; [unrolled: 1-line block ×3, first 2 shown]
	s_waitcnt lgkmcnt(0)
	s_barrier
	ds_read2_b64 v[12:15], v32 offset0:30 offset1:60
	ds_read2_b64 v[4:7], v1 offset0:14 offset1:44
	v_add3_u32 v30, 0, v33, v0
	ds_read_b64 v[0:1], v30
	s_mov_b32 s4, 0x3f575c64
	s_mov_b32 s5, 0x3ed4b147
	s_waitcnt lgkmcnt(1)
	v_sub_f32_e32 v49, v13, v7
	v_mul_f32_e32 v45, 0xbf0a6770, v49
	v_sub_f32_e32 v52, v15, v5
	v_add_f32_e32 v35, v6, v12
	v_mov_b32_e32 v2, v45
	v_mul_f32_e32 v46, 0xbf68dda4, v52
	v_fmac_f32_e32 v2, 0x3f575c64, v35
	v_add_f32_e32 v36, v4, v14
	v_mov_b32_e32 v8, v46
	s_waitcnt lgkmcnt(0)
	v_add_f32_e32 v2, v0, v2
	v_fmac_f32_e32 v8, 0x3ed4b147, v36
	v_add_f32_e32 v2, v8, v2
	ds_read2_b64 v[16:19], v32 offset0:90 offset1:120
	ds_read2_b64 v[8:11], v32 offset0:210 offset1:240
	v_sub_f32_e32 v53, v12, v6
	v_add_f32_e32 v37, v7, v13
	v_mul_f32_e32 v47, 0xbf0a6770, v53
	v_sub_f32_e32 v57, v14, v4
	v_fma_f32 v3, v37, s4, -v47
	v_add_f32_e32 v38, v5, v15
	v_mul_f32_e32 v50, 0xbf68dda4, v57
	s_waitcnt lgkmcnt(0)
	v_sub_f32_e32 v55, v17, v11
	v_add_f32_e32 v3, v1, v3
	v_fma_f32 v20, v38, s5, -v50
	v_mul_f32_e32 v48, 0xbf7d64f0, v55
	v_add_f32_e32 v3, v20, v3
	v_add_f32_e32 v39, v10, v16
	v_mov_b32_e32 v20, v48
	v_sub_f32_e32 v61, v16, v10
	v_fmac_f32_e32 v20, 0xbe11bafb, v39
	s_mov_b32 s6, 0xbe11bafb
	v_add_f32_e32 v41, v11, v17
	v_mul_f32_e32 v54, 0xbf7d64f0, v61
	v_sub_f32_e32 v59, v19, v9
	v_add_f32_e32 v2, v20, v2
	v_fma_f32 v20, v41, s6, -v54
	v_mul_f32_e32 v51, 0xbf4178ce, v59
	v_add_f32_e32 v3, v20, v3
	v_add_f32_e32 v40, v8, v18
	v_mov_b32_e32 v20, v51
	v_fmac_f32_e32 v20, 0xbf27a4f4, v40
	v_add_f32_e32 v2, v20, v2
	ds_read2_b64 v[20:23], v32 offset0:150 offset1:180
	v_sub_f32_e32 v63, v18, v8
	s_mov_b32 s7, 0xbf27a4f4
	v_add_f32_e32 v43, v9, v19
	v_mul_f32_e32 v58, 0xbf4178ce, v63
	s_waitcnt lgkmcnt(0)
	v_sub_f32_e32 v62, v21, v23
	v_fma_f32 v26, v43, s7, -v58
	v_mul_f32_e32 v56, 0xbe903f40, v62
	v_sub_f32_e32 v64, v20, v22
	v_add_f32_e32 v3, v26, v3
	s_mov_b32 s10, 0xbf75a155
	v_add_f32_e32 v42, v22, v20
	v_mov_b32_e32 v26, v56
	v_add_f32_e32 v44, v23, v21
	v_mul_f32_e32 v60, 0xbe903f40, v64
	v_fmac_f32_e32 v26, 0xbf75a155, v42
	v_fma_f32 v27, v44, s10, -v60
	v_add_f32_e32 v2, v26, v2
	v_add_f32_e32 v3, v27, v3
	v_cmp_gt_u32_e64 s[0:1], 30, v28
	s_barrier
	s_and_saveexec_b64 s[2:3], s[0:1]
	s_cbranch_execz .LBB0_12
; %bb.11:
	v_mul_f32_e32 v65, 0xbe903f40, v53
	v_add_f32_e32 v13, v1, v13
	v_add_f32_e32 v12, v0, v12
	v_mov_b32_e32 v26, v65
	v_mul_f32_e32 v66, 0x3f0a6770, v57
	v_add_f32_e32 v13, v13, v15
	v_add_f32_e32 v12, v12, v14
	v_fmac_f32_e32 v26, 0xbf75a155, v37
	v_mov_b32_e32 v27, v66
	v_add_f32_e32 v13, v13, v17
	v_add_f32_e32 v12, v12, v16
	;; [unrolled: 1-line block ×3, first 2 shown]
	v_fmac_f32_e32 v27, 0x3f575c64, v38
	v_mul_f32_e32 v67, 0xbf4178ce, v61
	v_add_f32_e32 v13, v13, v19
	v_add_f32_e32 v12, v12, v18
	;; [unrolled: 1-line block ×3, first 2 shown]
	v_mov_b32_e32 v27, v67
	v_add_f32_e32 v13, v13, v21
	v_add_f32_e32 v12, v12, v20
	v_fmac_f32_e32 v27, 0xbf27a4f4, v41
	v_mul_f32_e32 v68, 0x3f68dda4, v63
	v_add_f32_e32 v19, v13, v23
	v_add_f32_e32 v20, v12, v22
	;; [unrolled: 1-line block ×3, first 2 shown]
	v_mov_b32_e32 v27, v68
	v_add_f32_e32 v9, v19, v9
	v_add_f32_e32 v8, v20, v8
	v_mul_f32_e32 v19, 0xbf7d64f0, v53
	v_fmac_f32_e32 v27, 0x3ed4b147, v43
	v_mul_f32_e32 v69, 0xbf7d64f0, v64
	v_add_f32_e32 v8, v8, v10
	v_mov_b32_e32 v10, v19
	v_mul_f32_e32 v20, 0x3e903f40, v57
	v_add_f32_e32 v26, v27, v26
	v_mov_b32_e32 v27, v69
	v_add_f32_e32 v9, v9, v11
	v_fmac_f32_e32 v10, 0xbe11bafb, v37
	v_mov_b32_e32 v11, v20
	v_add_f32_e32 v4, v8, v4
	v_mul_f32_e32 v79, 0x3f68dda4, v61
	v_fmac_f32_e32 v27, 0xbe11bafb, v44
	v_mul_f32_e32 v70, 0xbe903f40, v49
	v_add_f32_e32 v10, v1, v10
	v_fmac_f32_e32 v11, 0xbf75a155, v38
	v_add_f32_e32 v5, v9, v5
	v_add_f32_e32 v4, v4, v6
	v_mov_b32_e32 v6, v79
	v_mul_f32_e32 v80, 0xbf0a6770, v63
	v_add_f32_e32 v27, v27, v26
	v_fma_f32 v26, v35, s10, -v70
	v_mul_f32_e32 v71, 0x3f0a6770, v52
	v_add_f32_e32 v10, v11, v10
	v_add_f32_e32 v5, v5, v7
	v_fmac_f32_e32 v6, 0x3ed4b147, v41
	v_mov_b32_e32 v7, v80
	v_add_f32_e32 v26, v0, v26
	v_fma_f32 v72, v36, s4, -v71
	v_add_f32_e32 v6, v6, v10
	v_fmac_f32_e32 v7, 0x3f575c64, v43
	v_mul_f32_e32 v81, 0xbf7d64f0, v49
	v_add_f32_e32 v26, v72, v26
	v_mul_f32_e32 v72, 0xbf4178ce, v55
	v_add_f32_e32 v6, v7, v6
	v_fma_f32 v7, v35, s6, -v81
	v_mul_f32_e32 v82, 0x3e903f40, v52
	v_fma_f32 v73, v39, s7, -v72
	v_add_f32_e32 v7, v0, v7
	v_fma_f32 v8, v36, s10, -v82
	v_mul_f32_e32 v83, 0x3f68dda4, v55
	v_add_f32_e32 v26, v73, v26
	v_mul_f32_e32 v73, 0x3f68dda4, v59
	v_add_f32_e32 v7, v8, v7
	v_fma_f32 v8, v39, s5, -v83
	v_mul_f32_e32 v84, 0xbf0a6770, v59
	v_fma_f32 v74, v40, s5, -v73
	v_add_f32_e32 v7, v8, v7
	v_fma_f32 v8, v40, s4, -v84
	v_mul_f32_e32 v85, 0xbf4178ce, v64
	v_add_f32_e32 v26, v74, v26
	v_mul_f32_e32 v74, 0xbf7d64f0, v62
	v_add_f32_e32 v8, v8, v7
	v_mov_b32_e32 v7, v85
	v_fma_f32 v75, v42, s6, -v74
	v_fmac_f32_e32 v7, 0xbf27a4f4, v44
	v_mul_f32_e32 v86, 0xbf4178ce, v62
	v_add_f32_e32 v26, v75, v26
	v_mul_f32_e32 v75, 0xbf4178ce, v53
	v_add_f32_e32 v7, v7, v6
	v_fma_f32 v6, v42, s7, -v86
	v_mul_f32_e32 v53, 0xbf68dda4, v53
	v_mov_b32_e32 v14, v75
	v_mul_f32_e32 v76, 0x3f7d64f0, v57
	v_add_f32_e32 v6, v6, v8
	v_mov_b32_e32 v8, v53
	v_mul_f32_e32 v57, 0xbf4178ce, v57
	v_fmac_f32_e32 v14, 0xbf27a4f4, v37
	v_mov_b32_e32 v15, v76
	v_fmac_f32_e32 v8, 0x3ed4b147, v37
	v_mov_b32_e32 v9, v57
	v_add_f32_e32 v14, v1, v14
	v_fmac_f32_e32 v15, 0xbe11bafb, v38
	v_mul_f32_e32 v77, 0xbf0a6770, v61
	v_add_f32_e32 v8, v1, v8
	v_fmac_f32_e32 v9, 0xbf27a4f4, v38
	v_mul_f32_e32 v61, 0x3e903f40, v61
	v_add_f32_e32 v14, v15, v14
	v_mov_b32_e32 v15, v77
	v_add_f32_e32 v8, v9, v8
	v_mov_b32_e32 v9, v61
	v_fmac_f32_e32 v15, 0x3f575c64, v41
	v_mul_f32_e32 v16, 0xbe903f40, v63
	v_fmac_f32_e32 v9, 0xbf75a155, v41
	v_mul_f32_e32 v63, 0x3f7d64f0, v63
	v_add_f32_e32 v14, v15, v14
	v_mov_b32_e32 v15, v16
	v_add_f32_e32 v8, v9, v8
	v_mov_b32_e32 v9, v63
	v_fmac_f32_e32 v15, 0xbf75a155, v43
	v_mul_f32_e32 v18, 0xbf4178ce, v49
	v_fmac_f32_e32 v9, 0xbe11bafb, v43
	v_mul_f32_e32 v49, 0xbf68dda4, v49
	v_add_f32_e32 v14, v15, v14
	v_fma_f32 v15, v35, s7, -v18
	v_mul_f32_e32 v21, 0x3f7d64f0, v52
	v_add_f32_e32 v8, v9, v8
	v_fma_f32 v9, v35, s5, -v49
	;; [unrolled: 3-line block ×6, first 2 shown]
	v_mul_f32_e32 v59, 0x3f7d64f0, v59
	v_mul_f32_e32 v17, 0x3f68dda4, v64
	v_add_f32_e32 v12, v13, v12
	v_fma_f32 v13, v40, s10, -v23
	v_add_f32_e32 v9, v10, v9
	v_fma_f32 v10, v40, s6, -v59
	v_mul_f32_e32 v64, 0x3f0a6770, v64
	v_add_f32_e32 v12, v13, v12
	v_mov_b32_e32 v13, v17
	v_add_f32_e32 v10, v10, v9
	v_mov_b32_e32 v9, v64
	v_fmac_f32_e32 v13, 0x3ed4b147, v44
	v_mul_f32_e32 v78, 0x3f68dda4, v62
	v_fmac_f32_e32 v9, 0x3f575c64, v44
	v_mul_f32_e32 v62, 0x3f0a6770, v62
	v_add_f32_e32 v13, v13, v14
	v_fma_f32 v14, v42, s5, -v78
	v_add_f32_e32 v9, v9, v8
	v_fma_f32 v8, v42, s4, -v62
	v_add_f32_e32 v12, v14, v12
	v_add_f32_e32 v8, v8, v10
	v_mul_f32_e32 v10, 0x3f575c64, v37
	v_mul_f32_e32 v14, 0x3f575c64, v35
	v_add_f32_e32 v10, v47, v10
	v_mul_f32_e32 v11, 0x3ed4b147, v38
	v_sub_f32_e32 v14, v14, v45
	v_mul_f32_e32 v15, 0x3ed4b147, v36
	v_add_f32_e32 v11, v50, v11
	v_add_f32_e32 v10, v1, v10
	v_sub_f32_e32 v15, v15, v46
	v_add_f32_e32 v14, v0, v14
	v_add_f32_e32 v10, v11, v10
	v_mul_f32_e32 v11, 0xbe11bafb, v41
	v_add_f32_e32 v14, v15, v14
	v_mul_f32_e32 v15, 0xbe11bafb, v39
	v_add_f32_e32 v11, v54, v11
	v_sub_f32_e32 v15, v15, v48
	v_fma_f32 v45, v37, s7, -v75
	v_add_f32_e32 v10, v11, v10
	v_mul_f32_e32 v11, 0xbf27a4f4, v43
	v_add_f32_e32 v14, v15, v14
	v_mul_f32_e32 v15, 0xbf27a4f4, v40
	v_add_f32_e32 v45, v1, v45
	v_fma_f32 v46, v38, s6, -v76
	v_add_f32_e32 v11, v58, v11
	v_sub_f32_e32 v15, v15, v51
	v_add_f32_e32 v45, v46, v45
	v_fma_f32 v46, v41, s4, -v77
	v_add_f32_e32 v10, v11, v10
	v_mul_f32_e32 v11, 0xbf75a155, v44
	v_add_f32_e32 v14, v15, v14
	v_mul_f32_e32 v15, 0xbf75a155, v42
	v_add_f32_e32 v45, v46, v45
	v_fma_f32 v16, v43, s10, -v16
	v_add_f32_e32 v11, v60, v11
	v_sub_f32_e32 v15, v15, v56
	v_add_f32_e32 v16, v16, v45
	v_fma_f32 v17, v44, s5, -v17
	v_fmac_f32_e32 v18, 0xbf27a4f4, v35
	v_add_f32_e32 v11, v11, v10
	v_add_f32_e32 v10, v15, v14
	v_fma_f32 v14, v37, s10, -v65
	v_add_f32_e32 v17, v17, v16
	v_add_f32_e32 v16, v0, v18
	v_fma_f32 v18, v37, s6, -v19
	v_add_f32_e32 v14, v1, v14
	v_fma_f32 v15, v38, s4, -v66
	;; [unrolled: 2-line block ×5, first 2 shown]
	v_fma_f32 v20, v37, s5, -v53
	v_add_f32_e32 v14, v15, v14
	v_fma_f32 v15, v43, s5, -v68
	v_add_f32_e32 v18, v19, v18
	;; [unrolled: 2-line block ×4, first 2 shown]
	v_fma_f32 v15, v44, s6, -v69
	v_fmac_f32_e32 v70, 0xbf75a155, v35
	v_add_f32_e32 v18, v19, v18
	v_fma_f32 v19, v44, s7, -v85
	v_fmac_f32_e32 v81, 0xbe11bafb, v35
	v_add_f32_e32 v1, v20, v1
	;; [unrolled: 3-line block ×3, first 2 shown]
	v_add_f32_e32 v14, v0, v70
	v_fmac_f32_e32 v71, 0x3f575c64, v36
	v_fmac_f32_e32 v21, 0xbe11bafb, v36
	v_add_f32_e32 v19, v19, v18
	v_add_f32_e32 v18, v0, v81
	v_fmac_f32_e32 v82, 0xbf75a155, v36
	v_add_f32_e32 v1, v20, v1
	v_fma_f32 v20, v43, s6, -v63
	v_add_f32_e32 v0, v0, v49
	v_fmac_f32_e32 v52, 0xbf27a4f4, v36
	v_add_f32_e32 v14, v71, v14
	v_fmac_f32_e32 v72, 0xbf27a4f4, v39
	;; [unrolled: 2-line block ×4, first 2 shown]
	v_add_f32_e32 v1, v20, v1
	v_fma_f32 v20, v44, s4, -v64
	v_add_f32_e32 v0, v52, v0
	v_fmac_f32_e32 v55, 0xbf75a155, v39
	v_add_f32_e32 v14, v72, v14
	v_fmac_f32_e32 v73, 0x3ed4b147, v40
	;; [unrolled: 2-line block ×4, first 2 shown]
	v_add_f32_e32 v1, v20, v1
	v_add_f32_e32 v0, v55, v0
	v_fmac_f32_e32 v59, 0xbe11bafb, v40
	v_mul_u32_u24_e32 v20, 0x50, v28
	v_add_f32_e32 v14, v73, v14
	v_fmac_f32_e32 v74, 0xbe11bafb, v42
	v_add_f32_e32 v16, v23, v16
	v_fmac_f32_e32 v78, 0x3ed4b147, v42
	;; [unrolled: 2-line block ×4, first 2 shown]
	v_add3_u32 v20, v34, v20, v33
	v_add_f32_e32 v14, v74, v14
	v_add_f32_e32 v16, v78, v16
	;; [unrolled: 1-line block ×4, first 2 shown]
	ds_write2_b64 v20, v[4:5], v[10:11] offset1:1
	ds_write2_b64 v20, v[8:9], v[6:7] offset0:2 offset1:3
	ds_write2_b64 v20, v[12:13], v[26:27] offset0:4 offset1:5
	;; [unrolled: 1-line block ×4, first 2 shown]
	ds_write_b64 v20, v[2:3] offset:80
.LBB0_12:
	s_or_b64 exec, exec, s[2:3]
	s_movk_i32 s0, 0x75
	v_mul_lo_u16_sdwa v0, v28, s0 dst_sel:DWORD dst_unused:UNUSED_PAD src0_sel:BYTE_0 src1_sel:DWORD
	v_sub_u16_sdwa v1, v28, v0 dst_sel:DWORD dst_unused:UNUSED_PAD src0_sel:DWORD src1_sel:BYTE_1
	v_lshrrev_b16_e32 v1, 1, v1
	v_and_b32_e32 v1, 0x7f, v1
	v_add_u16_sdwa v0, v1, v0 dst_sel:DWORD dst_unused:UNUSED_PAD src0_sel:DWORD src1_sel:BYTE_1
	v_lshrrev_b16_e32 v49, 3, v0
	v_mul_lo_u16_e32 v0, 11, v49
	v_sub_u16_e32 v50, v28, v0
	v_mov_b32_e32 v0, 9
	v_mul_u32_u24_sdwa v0, v50, v0 dst_sel:DWORD dst_unused:UNUSED_PAD src0_sel:BYTE_0 src1_sel:DWORD
	v_lshlrev_b32_e32 v20, 3, v0
	s_waitcnt lgkmcnt(0)
	s_barrier
	global_load_dwordx4 v[4:7], v20, s[8:9]
	global_load_dwordx4 v[8:11], v20, s[8:9] offset:16
	global_load_dwordx4 v[12:15], v20, s[8:9] offset:32
	;; [unrolled: 1-line block ×3, first 2 shown]
	global_load_dwordx2 v[0:1], v20, s[8:9] offset:64
	ds_read2_b64 v[20:23], v32 offset0:33 offset1:66
	ds_read2_b64 v[35:38], v32 offset0:99 offset1:132
	;; [unrolled: 1-line block ×3, first 2 shown]
	v_add_u32_e32 v51, 0x400, v32
	ds_read_b64 v[26:27], v30
	ds_read_b64 v[47:48], v32 offset:2376
	ds_read2_b64 v[43:46], v51 offset0:103 offset1:136
	s_mov_b32 s2, 0x3f737871
	s_mov_b32 s0, 0xbf737871
	;; [unrolled: 1-line block ×4, first 2 shown]
	s_waitcnt vmcnt(0) lgkmcnt(0)
	s_barrier
	v_mul_f32_e32 v52, v5, v21
	v_mul_f32_e32 v53, v5, v20
	;; [unrolled: 1-line block ×10, first 2 shown]
	v_fma_f32 v20, v4, v20, -v52
	v_fmac_f32_e32 v53, v4, v21
	v_fma_f32 v4, v6, v22, -v5
	v_fmac_f32_e32 v7, v6, v23
	;; [unrolled: 2-line block ×3, first 2 shown]
	v_fma_f32 v10, v41, v14, -v57
	v_mul_f32_e32 v54, v9, v36
	v_mul_f32_e32 v9, v9, v35
	;; [unrolled: 1-line block ×4, first 2 shown]
	v_fmac_f32_e32 v15, v42, v14
	v_fma_f32 v14, v45, v18, -v59
	v_fmac_f32_e32 v19, v46, v18
	v_add_f32_e32 v18, v6, v10
	v_fma_f32 v5, v8, v35, -v54
	v_fmac_f32_e32 v9, v8, v36
	v_fmac_f32_e32 v13, v12, v40
	v_sub_f32_e32 v23, v4, v6
	v_sub_f32_e32 v35, v14, v10
	v_add_f32_e32 v36, v4, v14
	v_fma_f32 v40, -0.5, v18, v26
	v_sub_f32_e32 v21, v7, v19
	v_add_f32_e32 v18, v23, v35
	v_fma_f32 v23, -0.5, v36, v26
	v_mov_b32_e32 v36, v40
	v_mul_f32_e32 v58, v44, v17
	v_mul_f32_e32 v17, v43, v17
	v_mul_f32_e32 v60, v48, v1
	v_mul_f32_e32 v1, v47, v1
	v_fma_f32 v8, v12, v39, -v56
	v_sub_f32_e32 v22, v11, v15
	v_sub_f32_e32 v37, v6, v4
	;; [unrolled: 1-line block ×3, first 2 shown]
	v_add_f32_e32 v39, v27, v7
	v_fmac_f32_e32 v40, 0xbf737871, v21
	v_fmac_f32_e32 v36, 0x3f737871, v21
	v_fma_f32 v12, v43, v16, -v58
	v_fmac_f32_e32 v17, v44, v16
	v_fma_f32 v16, v47, v0, -v60
	v_fmac_f32_e32 v1, v48, v0
	v_add_f32_e32 v0, v26, v4
	v_add_f32_e32 v26, v37, v38
	;; [unrolled: 1-line block ×3, first 2 shown]
	v_mov_b32_e32 v37, v23
	v_fmac_f32_e32 v40, 0xbf167918, v22
	v_fmac_f32_e32 v36, 0x3f167918, v22
	;; [unrolled: 1-line block ×6, first 2 shown]
	v_add_f32_e32 v18, v35, v15
	v_fmac_f32_e32 v23, 0xbf167918, v21
	v_fmac_f32_e32 v37, 0x3f167918, v21
	v_add_f32_e32 v21, v18, v19
	v_add_f32_e32 v18, v11, v15
	;; [unrolled: 1-line block ×3, first 2 shown]
	v_fma_f32 v22, -0.5, v18, v27
	v_add_f32_e32 v0, v0, v10
	v_fmac_f32_e32 v23, 0x3e9e377a, v26
	v_fmac_f32_e32 v37, 0x3e9e377a, v26
	v_sub_f32_e32 v4, v4, v14
	v_mov_b32_e32 v26, v22
	v_add_f32_e32 v0, v0, v14
	v_fmac_f32_e32 v26, 0xbf737871, v4
	v_sub_f32_e32 v6, v6, v10
	v_sub_f32_e32 v10, v7, v11
	;; [unrolled: 1-line block ×3, first 2 shown]
	v_fmac_f32_e32 v22, 0x3f737871, v4
	v_fmac_f32_e32 v26, 0xbf167918, v6
	v_add_f32_e32 v10, v10, v14
	v_fmac_f32_e32 v22, 0x3f167918, v6
	v_fmac_f32_e32 v26, 0x3e9e377a, v10
	;; [unrolled: 1-line block ×3, first 2 shown]
	v_add_f32_e32 v10, v7, v19
	v_fmac_f32_e32 v27, -0.5, v10
	v_mov_b32_e32 v35, v27
	v_fmac_f32_e32 v35, 0x3f737871, v6
	v_fmac_f32_e32 v27, 0xbf737871, v6
	;; [unrolled: 1-line block ×4, first 2 shown]
	v_add_f32_e32 v4, v20, v5
	v_add_f32_e32 v4, v4, v8
	;; [unrolled: 1-line block ×3, first 2 shown]
	v_sub_f32_e32 v7, v11, v7
	v_sub_f32_e32 v10, v15, v19
	v_add_f32_e32 v14, v4, v16
	v_add_f32_e32 v4, v8, v12
	;; [unrolled: 1-line block ×3, first 2 shown]
	v_fma_f32 v15, -0.5, v4, v20
	v_fmac_f32_e32 v35, 0x3e9e377a, v7
	v_fmac_f32_e32 v27, 0x3e9e377a, v7
	v_sub_f32_e32 v4, v9, v1
	v_mov_b32_e32 v7, v15
	v_fmac_f32_e32 v7, 0x3f737871, v4
	v_sub_f32_e32 v6, v13, v17
	v_sub_f32_e32 v10, v5, v8
	;; [unrolled: 1-line block ×3, first 2 shown]
	v_fmac_f32_e32 v15, 0xbf737871, v4
	v_fmac_f32_e32 v7, 0x3f167918, v6
	v_add_f32_e32 v10, v10, v11
	v_fmac_f32_e32 v15, 0xbf167918, v6
	v_fmac_f32_e32 v7, 0x3e9e377a, v10
	;; [unrolled: 1-line block ×3, first 2 shown]
	v_add_f32_e32 v10, v5, v16
	v_fmac_f32_e32 v20, -0.5, v10
	v_mov_b32_e32 v11, v20
	v_fmac_f32_e32 v11, 0xbf737871, v6
	v_fmac_f32_e32 v20, 0x3f737871, v6
	;; [unrolled: 1-line block ×4, first 2 shown]
	v_add_f32_e32 v4, v53, v9
	v_add_f32_e32 v4, v4, v13
	;; [unrolled: 1-line block ×3, first 2 shown]
	v_sub_f32_e32 v10, v8, v5
	v_sub_f32_e32 v18, v12, v16
	v_add_f32_e32 v19, v4, v1
	v_add_f32_e32 v4, v13, v17
	;; [unrolled: 1-line block ×3, first 2 shown]
	v_fma_f32 v18, -0.5, v4, v53
	v_sub_f32_e32 v4, v5, v16
	v_mov_b32_e32 v16, v18
	v_fmac_f32_e32 v16, 0xbf737871, v4
	v_sub_f32_e32 v5, v8, v12
	v_sub_f32_e32 v6, v9, v13
	;; [unrolled: 1-line block ×3, first 2 shown]
	v_fmac_f32_e32 v18, 0x3f737871, v4
	v_fmac_f32_e32 v16, 0xbf167918, v5
	v_add_f32_e32 v6, v6, v8
	v_fmac_f32_e32 v18, 0x3f167918, v5
	v_fmac_f32_e32 v16, 0x3e9e377a, v6
	;; [unrolled: 1-line block ×3, first 2 shown]
	v_add_f32_e32 v6, v9, v1
	v_fmac_f32_e32 v53, -0.5, v6
	v_mov_b32_e32 v38, v53
	v_fmac_f32_e32 v38, 0x3f737871, v5
	v_sub_f32_e32 v6, v13, v9
	v_sub_f32_e32 v1, v17, v1
	v_fmac_f32_e32 v38, 0xbf167918, v4
	v_add_f32_e32 v1, v6, v1
	v_fmac_f32_e32 v53, 0xbf737871, v5
	v_fmac_f32_e32 v20, 0x3e9e377a, v10
	;; [unrolled: 1-line block ×6, first 2 shown]
	v_mul_f32_e32 v17, 0x3f737871, v38
	v_mul_f32_e32 v5, 0x3e9e377a, v20
	;; [unrolled: 1-line block ×3, first 2 shown]
	v_fmac_f32_e32 v17, 0x3e9e377a, v11
	v_fma_f32 v39, v53, s2, -v5
	v_mul_f32_e32 v43, 0xbf737871, v11
	v_mul_f32_e32 v11, 0x3e9e377a, v53
	;; [unrolled: 1-line block ×3, first 2 shown]
	v_fmac_f32_e32 v1, 0x3f4f1bbd, v7
	v_add_f32_e32 v10, v23, v39
	v_mul_f32_e32 v5, 0x3f4f1bbd, v15
	v_mul_f32_e32 v42, 0xbf167918, v7
	v_fmac_f32_e32 v43, 0x3e9e377a, v38
	v_fma_f32 v38, v20, s0, -v11
	v_fma_f32 v44, v15, s1, -v13
	v_sub_f32_e32 v20, v23, v39
	s_movk_i32 s0, 0x370
	v_mov_b32_e32 v23, 3
	v_add_f32_e32 v6, v36, v1
	v_fma_f32 v41, v18, s3, -v5
	v_fmac_f32_e32 v42, 0x3f4f1bbd, v16
	v_add_f32_e32 v13, v22, v44
	v_sub_f32_e32 v16, v36, v1
	v_sub_f32_e32 v1, v22, v44
	v_mad_u32_u24 v22, v49, s0, 0
	v_lshlrev_b32_sdwa v23, v23, v50 dst_sel:DWORD dst_unused:UNUSED_PAD src0_sel:DWORD src1_sel:BYTE_0
	v_add_f32_e32 v4, v0, v14
	v_add_f32_e32 v8, v37, v17
	;; [unrolled: 1-line block ×7, first 2 shown]
	v_sub_f32_e32 v14, v0, v14
	v_sub_f32_e32 v18, v37, v17
	v_sub_f32_e32 v15, v21, v19
	v_sub_f32_e32 v17, v26, v42
	v_sub_f32_e32 v19, v35, v43
	v_add3_u32 v22, v22, v23, v33
	v_sub_f32_e32 v0, v40, v41
	v_sub_f32_e32 v21, v27, v38
	ds_write2_b64 v22, v[4:5], v[6:7] offset1:11
	ds_write2_b64 v22, v[8:9], v[10:11] offset0:22 offset1:33
	ds_write2_b64 v22, v[12:13], v[14:15] offset0:44 offset1:55
	;; [unrolled: 1-line block ×4, first 2 shown]
	s_waitcnt lgkmcnt(0)
	s_barrier
	ds_read_b64 v[22:23], v30
	ds_read2_b64 v[16:19], v32 offset0:110 offset1:143
	ds_read2_b64 v[8:11], v32 offset0:176 offset1:220
	;; [unrolled: 1-line block ×4, first 2 shown]
	v_cmp_gt_u32_e64 s[0:1], 11, v28
                                        ; implicit-def: $vgpr21
	s_and_saveexec_b64 s[2:3], s[0:1]
	s_cbranch_execz .LBB0_14
; %bb.13:
	ds_read2_b64 v[0:3], v32 offset0:99 offset1:209
	ds_read_b64 v[20:21], v32 offset:2552
.LBB0_14:
	s_or_b64 exec, exec, s[2:3]
	v_lshlrev_b32_e32 v26, 1, v28
	v_mov_b32_e32 v27, 0
	v_lshlrev_b64 v[35:36], 3, v[26:27]
	v_lshlrev_b32_e32 v26, 1, v29
	v_mov_b32_e32 v45, s9
	v_add_co_u32_e64 v35, s[2:3], s8, v35
	v_lshlrev_b64 v[39:40], 3, v[26:27]
	v_add_u32_e32 v33, 0x42, v28
	v_addc_co_u32_e64 v36, s[2:3], v45, v36, s[2:3]
	v_lshlrev_b32_e32 v26, 1, v33
	v_add_co_u32_e64 v39, s[2:3], s8, v39
	v_lshlrev_b64 v[43:44], 3, v[26:27]
	v_addc_co_u32_e64 v40, s[2:3], v45, v40, s[2:3]
	global_load_dwordx4 v[35:38], v[35:36], off offset:792
	v_add_co_u32_e64 v43, s[2:3], s8, v43
	global_load_dwordx4 v[39:42], v[39:40], off offset:792
	v_addc_co_u32_e64 v44, s[2:3], v45, v44, s[2:3]
	global_load_dwordx4 v[43:46], v[43:44], off offset:792
	v_lshl_add_u32 v26, v31, 3, v34
	v_add_u32_e32 v31, 0x63, v28
	s_waitcnt vmcnt(0) lgkmcnt(0)
	s_barrier
	v_mul_f32_e32 v34, v36, v17
	v_mul_f32_e32 v36, v36, v16
	;; [unrolled: 1-line block ×4, first 2 shown]
	v_fma_f32 v16, v35, v16, -v34
	v_fmac_f32_e32 v36, v35, v17
	v_fmac_f32_e32 v38, v37, v11
	v_mul_f32_e32 v11, v40, v19
	v_mul_f32_e32 v17, v40, v18
	;; [unrolled: 1-line block ×4, first 2 shown]
	v_fma_f32 v11, v39, v18, -v11
	v_fmac_f32_e32 v17, v39, v19
	v_fma_f32 v12, v41, v12, -v34
	v_fmac_f32_e32 v35, v41, v13
	v_mul_f32_e32 v13, v44, v9
	v_mul_f32_e32 v19, v44, v8
	;; [unrolled: 1-line block ×4, first 2 shown]
	v_fma_f32 v10, v37, v10, -v47
	v_add_f32_e32 v37, v22, v16
	v_sub_f32_e32 v40, v36, v38
	v_add_f32_e32 v41, v23, v36
	v_add_f32_e32 v36, v36, v38
	v_fma_f32 v42, v43, v8, -v13
	v_fmac_f32_e32 v19, v43, v9
	v_fma_f32 v43, v45, v14, -v18
	v_fmac_f32_e32 v34, v45, v15
	v_add_f32_e32 v13, v4, v11
	v_add_f32_e32 v14, v11, v12
	;; [unrolled: 1-line block ×6, first 2 shown]
	v_fmac_f32_e32 v23, -0.5, v36
	v_sub_f32_e32 v18, v17, v35
	v_add_f32_e32 v17, v17, v35
	v_sub_f32_e32 v36, v11, v12
	v_add_f32_e32 v12, v13, v12
	v_fma_f32 v4, -0.5, v14, v4
	v_add_f32_e32 v13, v15, v35
	v_add_f32_e32 v35, v42, v43
	v_sub_f32_e32 v37, v19, v34
	v_add_f32_e32 v38, v7, v19
	v_add_f32_e32 v19, v19, v34
	v_sub_f32_e32 v16, v16, v10
	v_fma_f32 v22, -0.5, v39, v22
	v_mov_b32_e32 v11, v23
	v_fma_f32 v5, -0.5, v17, v5
	v_add_f32_e32 v17, v6, v42
	v_mov_b32_e32 v14, v4
	v_fma_f32 v6, -0.5, v35, v6
	v_fmac_f32_e32 v7, -0.5, v19
	v_mov_b32_e32 v10, v22
	v_fmac_f32_e32 v22, 0xbf5db3d7, v40
	v_fmac_f32_e32 v23, 0x3f5db3d7, v16
	;; [unrolled: 1-line block ×4, first 2 shown]
	v_mov_b32_e32 v15, v5
	v_add_f32_e32 v16, v17, v43
	v_add_f32_e32 v17, v38, v34
	v_fmac_f32_e32 v14, 0x3f5db3d7, v18
	v_mov_b32_e32 v18, v6
	v_sub_f32_e32 v34, v42, v43
	v_mov_b32_e32 v19, v7
	v_fmac_f32_e32 v10, 0x3f5db3d7, v40
	v_fmac_f32_e32 v5, 0x3f5db3d7, v36
	;; [unrolled: 1-line block ×7, first 2 shown]
	ds_write_b64 v32, v[22:23] offset:1760
	ds_write2_b64 v32, v[8:9], v[12:13] offset1:33
	ds_write2_b64 v32, v[16:17], v[10:11] offset0:66 offset1:110
	ds_write2_b64 v26, v[14:15], v[18:19] offset0:143 offset1:176
	v_add_u32_e32 v8, 0x400, v26
	ds_write2_b64 v8, v[4:5], v[6:7] offset0:125 offset1:158
	s_and_saveexec_b64 s[2:3], s[0:1]
	s_cbranch_execz .LBB0_16
; %bb.15:
	v_add_u32_e32 v4, -11, v28
	v_cndmask_b32_e64 v4, v4, v31, s[0:1]
	v_lshlrev_b32_e32 v26, 1, v4
	v_lshlrev_b64 v[4:5], 3, v[26:27]
	v_mov_b32_e32 v6, s9
	v_add_co_u32_e64 v4, s[0:1], s8, v4
	v_addc_co_u32_e64 v5, s[0:1], v6, v5, s[0:1]
	global_load_dwordx4 v[4:7], v[4:5], off offset:792
	s_waitcnt vmcnt(0)
	v_mul_f32_e32 v8, v3, v5
	v_mul_f32_e32 v9, v21, v7
	;; [unrolled: 1-line block ×4, first 2 shown]
	v_fma_f32 v2, v2, v4, -v8
	v_fma_f32 v8, v20, v6, -v9
	v_fmac_f32_e32 v5, v3, v4
	v_fmac_f32_e32 v7, v21, v6
	v_add_f32_e32 v3, v5, v7
	v_add_f32_e32 v9, v2, v8
	v_sub_f32_e32 v6, v2, v8
	v_add_f32_e32 v4, v1, v5
	v_sub_f32_e32 v10, v5, v7
	v_add_f32_e32 v2, v0, v2
	v_fma_f32 v1, -0.5, v3, v1
	v_fma_f32 v0, -0.5, v9, v0
	v_add_f32_e32 v3, v4, v7
	v_add_f32_e32 v2, v2, v8
	v_mov_b32_e32 v5, v1
	v_fmac_f32_e32 v1, 0xbf5db3d7, v6
	v_mov_b32_e32 v4, v0
	v_fmac_f32_e32 v0, 0x3f5db3d7, v10
	v_fmac_f32_e32 v5, 0x3f5db3d7, v6
	;; [unrolled: 1-line block ×3, first 2 shown]
	ds_write2_b64 v32, v[2:3], v[0:1] offset0:99 offset1:209
	ds_write_b64 v32, v[4:5] offset:2552
.LBB0_16:
	s_or_b64 exec, exec, s[2:3]
	s_waitcnt lgkmcnt(0)
	s_barrier
	s_and_saveexec_b64 s[0:1], vcc
	s_cbranch_execz .LBB0_18
; %bb.17:
	v_mad_u64_u32 v[4:5], s[0:1], s12, v28, 0
	v_add_co_u32_e32 v10, vcc, s14, v24
	v_mov_b32_e32 v0, v5
	v_mad_u64_u32 v[5:6], s[0:1], s13, v28, v[0:1]
	v_mov_b32_e32 v6, s15
	v_addc_co_u32_e32 v11, vcc, v6, v25, vcc
	v_mad_u64_u32 v[6:7], s[0:1], s12, v29, 0
	ds_read2_b64 v[0:3], v30 offset1:33
	v_lshlrev_b64 v[4:5], 3, v[4:5]
	v_mad_u64_u32 v[7:8], s[0:1], s13, v29, v[7:8]
	v_mad_u64_u32 v[8:9], s[0:1], s12, v33, 0
	v_add_co_u32_e32 v4, vcc, v10, v4
	v_addc_co_u32_e32 v5, vcc, v11, v5, vcc
	s_waitcnt lgkmcnt(0)
	global_store_dwordx2 v[4:5], v[0:1], off
	v_mov_b32_e32 v4, v9
	v_mad_u64_u32 v[4:5], s[0:1], s13, v33, v[4:5]
	v_lshlrev_b64 v[0:1], 3, v[6:7]
	v_mad_u64_u32 v[6:7], s[0:1], s12, v31, 0
	v_add_co_u32_e32 v0, vcc, v10, v0
	v_addc_co_u32_e32 v1, vcc, v11, v1, vcc
	v_mov_b32_e32 v9, v4
	global_store_dwordx2 v[0:1], v[2:3], off
	ds_read2_b64 v[0:3], v30 offset0:66 offset1:99
	v_lshlrev_b64 v[4:5], 3, v[8:9]
	v_mad_u64_u32 v[7:8], s[0:1], s13, v31, v[7:8]
	v_add_u32_e32 v12, 0x84, v28
	v_mad_u64_u32 v[8:9], s[0:1], s12, v12, 0
	v_add_co_u32_e32 v4, vcc, v10, v4
	v_addc_co_u32_e32 v5, vcc, v11, v5, vcc
	s_waitcnt lgkmcnt(0)
	global_store_dwordx2 v[4:5], v[0:1], off
	v_mov_b32_e32 v4, v9
	v_mad_u64_u32 v[4:5], s[0:1], s13, v12, v[4:5]
	v_lshlrev_b64 v[0:1], 3, v[6:7]
	v_add_u32_e32 v12, 0xc6, v28
	v_mov_b32_e32 v9, v4
	v_lshlrev_b64 v[4:5], 3, v[8:9]
	v_add_u32_e32 v8, 0xa5, v28
	v_mad_u64_u32 v[6:7], s[0:1], s12, v8, 0
	v_add_co_u32_e32 v0, vcc, v10, v0
	v_addc_co_u32_e32 v1, vcc, v11, v1, vcc
	global_store_dwordx2 v[0:1], v[2:3], off
	ds_read2_b64 v[0:3], v30 offset0:132 offset1:165
	v_mad_u64_u32 v[7:8], s[0:1], s13, v8, v[7:8]
	v_mad_u64_u32 v[8:9], s[0:1], s12, v12, 0
	v_add_co_u32_e32 v4, vcc, v10, v4
	v_addc_co_u32_e32 v5, vcc, v11, v5, vcc
	s_waitcnt lgkmcnt(0)
	global_store_dwordx2 v[4:5], v[0:1], off
	v_mov_b32_e32 v4, v9
	v_mad_u64_u32 v[4:5], s[0:1], s13, v12, v[4:5]
	v_lshlrev_b64 v[0:1], 3, v[6:7]
	v_add_u32_e32 v12, 0x108, v28
	v_mov_b32_e32 v9, v4
	v_lshlrev_b64 v[4:5], 3, v[8:9]
	v_add_u32_e32 v8, 0xe7, v28
	v_mad_u64_u32 v[6:7], s[0:1], s12, v8, 0
	v_add_co_u32_e32 v0, vcc, v10, v0
	v_addc_co_u32_e32 v1, vcc, v11, v1, vcc
	global_store_dwordx2 v[0:1], v[2:3], off
	ds_read2_b64 v[0:3], v30 offset0:198 offset1:231
	v_mad_u64_u32 v[7:8], s[0:1], s13, v8, v[7:8]
	v_mad_u64_u32 v[8:9], s[0:1], s12, v12, 0
	v_add_co_u32_e32 v4, vcc, v10, v4
	v_addc_co_u32_e32 v5, vcc, v11, v5, vcc
	s_waitcnt lgkmcnt(0)
	global_store_dwordx2 v[4:5], v[0:1], off
	v_mov_b32_e32 v4, v9
	v_mad_u64_u32 v[4:5], s[0:1], s13, v12, v[4:5]
	v_lshlrev_b64 v[0:1], 3, v[6:7]
	v_add_u32_e32 v12, 0x129, v28
	v_add_co_u32_e32 v0, vcc, v10, v0
	v_mov_b32_e32 v9, v4
	v_mad_u64_u32 v[4:5], s[0:1], s12, v12, 0
	v_addc_co_u32_e32 v1, vcc, v11, v1, vcc
	global_store_dwordx2 v[0:1], v[2:3], off
	v_add_u32_e32 v0, 0x800, v30
	v_lshlrev_b64 v[6:7], 3, v[8:9]
	ds_read2_b64 v[0:3], v0 offset0:8 offset1:41
	v_mad_u64_u32 v[8:9], s[0:1], s13, v12, v[5:6]
	v_add_co_u32_e32 v5, vcc, v10, v6
	v_addc_co_u32_e32 v6, vcc, v11, v7, vcc
	s_waitcnt lgkmcnt(0)
	global_store_dwordx2 v[5:6], v[0:1], off
	v_mov_b32_e32 v5, v8
	v_lshlrev_b64 v[0:1], 3, v[4:5]
	v_add_co_u32_e32 v0, vcc, v10, v0
	v_addc_co_u32_e32 v1, vcc, v11, v1, vcc
	global_store_dwordx2 v[0:1], v[2:3], off
.LBB0_18:
	s_endpgm
	.section	.rodata,"a",@progbits
	.p2align	6, 0x0
	.amdhsa_kernel fft_rtc_fwd_len330_factors_11_10_3_wgs_99_tpt_33_sp_ip_CI_sbrr_dirReg
		.amdhsa_group_segment_fixed_size 0
		.amdhsa_private_segment_fixed_size 0
		.amdhsa_kernarg_size 88
		.amdhsa_user_sgpr_count 6
		.amdhsa_user_sgpr_private_segment_buffer 1
		.amdhsa_user_sgpr_dispatch_ptr 0
		.amdhsa_user_sgpr_queue_ptr 0
		.amdhsa_user_sgpr_kernarg_segment_ptr 1
		.amdhsa_user_sgpr_dispatch_id 0
		.amdhsa_user_sgpr_flat_scratch_init 0
		.amdhsa_user_sgpr_private_segment_size 0
		.amdhsa_uses_dynamic_stack 0
		.amdhsa_system_sgpr_private_segment_wavefront_offset 0
		.amdhsa_system_sgpr_workgroup_id_x 1
		.amdhsa_system_sgpr_workgroup_id_y 0
		.amdhsa_system_sgpr_workgroup_id_z 0
		.amdhsa_system_sgpr_workgroup_info 0
		.amdhsa_system_vgpr_workitem_id 0
		.amdhsa_next_free_vgpr 87
		.amdhsa_next_free_sgpr 24
		.amdhsa_reserve_vcc 1
		.amdhsa_reserve_flat_scratch 0
		.amdhsa_float_round_mode_32 0
		.amdhsa_float_round_mode_16_64 0
		.amdhsa_float_denorm_mode_32 3
		.amdhsa_float_denorm_mode_16_64 3
		.amdhsa_dx10_clamp 1
		.amdhsa_ieee_mode 1
		.amdhsa_fp16_overflow 0
		.amdhsa_exception_fp_ieee_invalid_op 0
		.amdhsa_exception_fp_denorm_src 0
		.amdhsa_exception_fp_ieee_div_zero 0
		.amdhsa_exception_fp_ieee_overflow 0
		.amdhsa_exception_fp_ieee_underflow 0
		.amdhsa_exception_fp_ieee_inexact 0
		.amdhsa_exception_int_div_zero 0
	.end_amdhsa_kernel
	.text
.Lfunc_end0:
	.size	fft_rtc_fwd_len330_factors_11_10_3_wgs_99_tpt_33_sp_ip_CI_sbrr_dirReg, .Lfunc_end0-fft_rtc_fwd_len330_factors_11_10_3_wgs_99_tpt_33_sp_ip_CI_sbrr_dirReg
                                        ; -- End function
	.section	.AMDGPU.csdata,"",@progbits
; Kernel info:
; codeLenInByte = 6784
; NumSgprs: 28
; NumVgprs: 87
; ScratchSize: 0
; MemoryBound: 0
; FloatMode: 240
; IeeeMode: 1
; LDSByteSize: 0 bytes/workgroup (compile time only)
; SGPRBlocks: 3
; VGPRBlocks: 21
; NumSGPRsForWavesPerEU: 28
; NumVGPRsForWavesPerEU: 87
; Occupancy: 2
; WaveLimiterHint : 1
; COMPUTE_PGM_RSRC2:SCRATCH_EN: 0
; COMPUTE_PGM_RSRC2:USER_SGPR: 6
; COMPUTE_PGM_RSRC2:TRAP_HANDLER: 0
; COMPUTE_PGM_RSRC2:TGID_X_EN: 1
; COMPUTE_PGM_RSRC2:TGID_Y_EN: 0
; COMPUTE_PGM_RSRC2:TGID_Z_EN: 0
; COMPUTE_PGM_RSRC2:TIDIG_COMP_CNT: 0
	.type	__hip_cuid_ead8c5211c9356ac,@object ; @__hip_cuid_ead8c5211c9356ac
	.section	.bss,"aw",@nobits
	.globl	__hip_cuid_ead8c5211c9356ac
__hip_cuid_ead8c5211c9356ac:
	.byte	0                               ; 0x0
	.size	__hip_cuid_ead8c5211c9356ac, 1

	.ident	"AMD clang version 19.0.0git (https://github.com/RadeonOpenCompute/llvm-project roc-6.4.0 25133 c7fe45cf4b819c5991fe208aaa96edf142730f1d)"
	.section	".note.GNU-stack","",@progbits
	.addrsig
	.addrsig_sym __hip_cuid_ead8c5211c9356ac
	.amdgpu_metadata
---
amdhsa.kernels:
  - .args:
      - .actual_access:  read_only
        .address_space:  global
        .offset:         0
        .size:           8
        .value_kind:     global_buffer
      - .offset:         8
        .size:           8
        .value_kind:     by_value
      - .actual_access:  read_only
        .address_space:  global
        .offset:         16
        .size:           8
        .value_kind:     global_buffer
      - .actual_access:  read_only
        .address_space:  global
        .offset:         24
        .size:           8
        .value_kind:     global_buffer
      - .offset:         32
        .size:           8
        .value_kind:     by_value
      - .actual_access:  read_only
        .address_space:  global
        .offset:         40
        .size:           8
        .value_kind:     global_buffer
      - .actual_access:  read_only
        .address_space:  global
        .offset:         48
        .size:           8
        .value_kind:     global_buffer
      - .offset:         56
        .size:           4
        .value_kind:     by_value
      - .actual_access:  read_only
        .address_space:  global
        .offset:         64
        .size:           8
        .value_kind:     global_buffer
      - .actual_access:  read_only
        .address_space:  global
        .offset:         72
        .size:           8
        .value_kind:     global_buffer
      - .address_space:  global
        .offset:         80
        .size:           8
        .value_kind:     global_buffer
    .group_segment_fixed_size: 0
    .kernarg_segment_align: 8
    .kernarg_segment_size: 88
    .language:       OpenCL C
    .language_version:
      - 2
      - 0
    .max_flat_workgroup_size: 99
    .name:           fft_rtc_fwd_len330_factors_11_10_3_wgs_99_tpt_33_sp_ip_CI_sbrr_dirReg
    .private_segment_fixed_size: 0
    .sgpr_count:     28
    .sgpr_spill_count: 0
    .symbol:         fft_rtc_fwd_len330_factors_11_10_3_wgs_99_tpt_33_sp_ip_CI_sbrr_dirReg.kd
    .uniform_work_group_size: 1
    .uses_dynamic_stack: false
    .vgpr_count:     87
    .vgpr_spill_count: 0
    .wavefront_size: 64
amdhsa.target:   amdgcn-amd-amdhsa--gfx906
amdhsa.version:
  - 1
  - 2
...

	.end_amdgpu_metadata
